;; amdgpu-corpus repo=ROCm/rocFFT kind=compiled arch=gfx1201 opt=O3
	.text
	.amdgcn_target "amdgcn-amd-amdhsa--gfx1201"
	.amdhsa_code_object_version 6
	.protected	fft_rtc_fwd_len2304_factors_6_6_4_4_4_wgs_192_tpt_192_halfLds_dp_op_CI_CI_unitstride_sbrr_C2R_dirReg ; -- Begin function fft_rtc_fwd_len2304_factors_6_6_4_4_4_wgs_192_tpt_192_halfLds_dp_op_CI_CI_unitstride_sbrr_C2R_dirReg
	.globl	fft_rtc_fwd_len2304_factors_6_6_4_4_4_wgs_192_tpt_192_halfLds_dp_op_CI_CI_unitstride_sbrr_C2R_dirReg
	.p2align	8
	.type	fft_rtc_fwd_len2304_factors_6_6_4_4_4_wgs_192_tpt_192_halfLds_dp_op_CI_CI_unitstride_sbrr_C2R_dirReg,@function
fft_rtc_fwd_len2304_factors_6_6_4_4_4_wgs_192_tpt_192_halfLds_dp_op_CI_CI_unitstride_sbrr_C2R_dirReg: ; @fft_rtc_fwd_len2304_factors_6_6_4_4_4_wgs_192_tpt_192_halfLds_dp_op_CI_CI_unitstride_sbrr_C2R_dirReg
; %bb.0:
	s_clause 0x2
	s_load_b128 s[8:11], s[0:1], 0x0
	s_load_b128 s[4:7], s[0:1], 0x58
	;; [unrolled: 1-line block ×3, first 2 shown]
	v_mul_u32_u24_e32 v1, 0x156, v0
	v_mov_b32_e32 v6, 0
	s_delay_alu instid0(VALU_DEP_2) | instskip(NEXT) | instid1(VALU_DEP_1)
	v_lshrrev_b32_e32 v1, 16, v1
	v_dual_mov_b32 v1, 0 :: v_dual_add_nc_u32 v10, ttmp9, v1
	s_delay_alu instid0(VALU_DEP_3) | instskip(SKIP_2) | instid1(VALU_DEP_1)
	v_dual_mov_b32 v11, v6 :: v_dual_mov_b32 v2, 0
	s_wait_kmcnt 0x0
	v_cmp_lt_u64_e64 s2, s[10:11], 2
	s_and_b32 vcc_lo, exec_lo, s2
	s_cbranch_vccnz .LBB0_8
; %bb.1:
	s_load_b64 s[2:3], s[0:1], 0x10
	v_mov_b32_e32 v1, 0
	v_mov_b32_e32 v2, 0
	s_add_nc_u64 s[16:17], s[14:15], 8
	s_add_nc_u64 s[18:19], s[12:13], 8
	s_mov_b64 s[20:21], 1
	s_delay_alu instid0(VALU_DEP_1)
	v_dual_mov_b32 v5, v2 :: v_dual_mov_b32 v4, v1
	s_wait_kmcnt 0x0
	s_add_nc_u64 s[22:23], s[2:3], 8
	s_mov_b32 s3, 0
.LBB0_2:                                ; =>This Inner Loop Header: Depth=1
	s_load_b64 s[24:25], s[22:23], 0x0
                                        ; implicit-def: $vgpr8_vgpr9
	s_mov_b32 s2, exec_lo
	s_wait_kmcnt 0x0
	v_or_b32_e32 v7, s25, v11
	s_delay_alu instid0(VALU_DEP_1)
	v_cmpx_ne_u64_e32 0, v[6:7]
	s_wait_alu 0xfffe
	s_xor_b32 s26, exec_lo, s2
	s_cbranch_execz .LBB0_4
; %bb.3:                                ;   in Loop: Header=BB0_2 Depth=1
	s_cvt_f32_u32 s2, s24
	s_cvt_f32_u32 s27, s25
	s_sub_nc_u64 s[30:31], 0, s[24:25]
	s_wait_alu 0xfffe
	s_delay_alu instid0(SALU_CYCLE_1) | instskip(SKIP_1) | instid1(SALU_CYCLE_2)
	s_fmamk_f32 s2, s27, 0x4f800000, s2
	s_wait_alu 0xfffe
	v_s_rcp_f32 s2, s2
	s_delay_alu instid0(TRANS32_DEP_1) | instskip(SKIP_1) | instid1(SALU_CYCLE_2)
	s_mul_f32 s2, s2, 0x5f7ffffc
	s_wait_alu 0xfffe
	s_mul_f32 s27, s2, 0x2f800000
	s_wait_alu 0xfffe
	s_delay_alu instid0(SALU_CYCLE_2) | instskip(SKIP_1) | instid1(SALU_CYCLE_2)
	s_trunc_f32 s27, s27
	s_wait_alu 0xfffe
	s_fmamk_f32 s2, s27, 0xcf800000, s2
	s_cvt_u32_f32 s29, s27
	s_wait_alu 0xfffe
	s_delay_alu instid0(SALU_CYCLE_1) | instskip(SKIP_1) | instid1(SALU_CYCLE_2)
	s_cvt_u32_f32 s28, s2
	s_wait_alu 0xfffe
	s_mul_u64 s[34:35], s[30:31], s[28:29]
	s_wait_alu 0xfffe
	s_mul_hi_u32 s37, s28, s35
	s_mul_i32 s36, s28, s35
	s_mul_hi_u32 s2, s28, s34
	s_mul_i32 s33, s29, s34
	s_wait_alu 0xfffe
	s_add_nc_u64 s[36:37], s[2:3], s[36:37]
	s_mul_hi_u32 s27, s29, s34
	s_mul_hi_u32 s38, s29, s35
	s_add_co_u32 s2, s36, s33
	s_wait_alu 0xfffe
	s_add_co_ci_u32 s2, s37, s27
	s_mul_i32 s34, s29, s35
	s_add_co_ci_u32 s35, s38, 0
	s_wait_alu 0xfffe
	s_add_nc_u64 s[34:35], s[2:3], s[34:35]
	s_wait_alu 0xfffe
	v_add_co_u32 v3, s2, s28, s34
	s_delay_alu instid0(VALU_DEP_1) | instskip(SKIP_1) | instid1(VALU_DEP_1)
	s_cmp_lg_u32 s2, 0
	s_add_co_ci_u32 s29, s29, s35
	v_readfirstlane_b32 s28, v3
	s_wait_alu 0xfffe
	s_delay_alu instid0(VALU_DEP_1)
	s_mul_u64 s[30:31], s[30:31], s[28:29]
	s_wait_alu 0xfffe
	s_mul_hi_u32 s35, s28, s31
	s_mul_i32 s34, s28, s31
	s_mul_hi_u32 s2, s28, s30
	s_mul_i32 s33, s29, s30
	s_wait_alu 0xfffe
	s_add_nc_u64 s[34:35], s[2:3], s[34:35]
	s_mul_hi_u32 s27, s29, s30
	s_mul_hi_u32 s28, s29, s31
	s_wait_alu 0xfffe
	s_add_co_u32 s2, s34, s33
	s_add_co_ci_u32 s2, s35, s27
	s_mul_i32 s30, s29, s31
	s_add_co_ci_u32 s31, s28, 0
	s_wait_alu 0xfffe
	s_add_nc_u64 s[30:31], s[2:3], s[30:31]
	s_wait_alu 0xfffe
	v_add_co_u32 v3, s2, v3, s30
	s_delay_alu instid0(VALU_DEP_1) | instskip(SKIP_1) | instid1(VALU_DEP_1)
	s_cmp_lg_u32 s2, 0
	s_add_co_ci_u32 s2, s29, s31
	v_mul_hi_u32 v9, v10, v3
	s_wait_alu 0xfffe
	v_mad_co_u64_u32 v[7:8], null, v10, s2, 0
	v_mad_co_u64_u32 v[12:13], null, v11, v3, 0
	;; [unrolled: 1-line block ×3, first 2 shown]
	s_delay_alu instid0(VALU_DEP_3) | instskip(SKIP_1) | instid1(VALU_DEP_4)
	v_add_co_u32 v3, vcc_lo, v9, v7
	s_wait_alu 0xfffd
	v_add_co_ci_u32_e32 v7, vcc_lo, 0, v8, vcc_lo
	s_delay_alu instid0(VALU_DEP_2) | instskip(SKIP_1) | instid1(VALU_DEP_2)
	v_add_co_u32 v3, vcc_lo, v3, v12
	s_wait_alu 0xfffd
	v_add_co_ci_u32_e32 v3, vcc_lo, v7, v13, vcc_lo
	s_wait_alu 0xfffd
	v_add_co_ci_u32_e32 v7, vcc_lo, 0, v15, vcc_lo
	s_delay_alu instid0(VALU_DEP_2) | instskip(SKIP_1) | instid1(VALU_DEP_2)
	v_add_co_u32 v3, vcc_lo, v3, v14
	s_wait_alu 0xfffd
	v_add_co_ci_u32_e32 v9, vcc_lo, 0, v7, vcc_lo
	s_delay_alu instid0(VALU_DEP_2) | instskip(SKIP_1) | instid1(VALU_DEP_3)
	v_mul_lo_u32 v12, s25, v3
	v_mad_co_u64_u32 v[7:8], null, s24, v3, 0
	v_mul_lo_u32 v13, s24, v9
	s_delay_alu instid0(VALU_DEP_2) | instskip(NEXT) | instid1(VALU_DEP_2)
	v_sub_co_u32 v7, vcc_lo, v10, v7
	v_add3_u32 v8, v8, v13, v12
	s_delay_alu instid0(VALU_DEP_1) | instskip(SKIP_1) | instid1(VALU_DEP_1)
	v_sub_nc_u32_e32 v12, v11, v8
	s_wait_alu 0xfffd
	v_subrev_co_ci_u32_e64 v12, s2, s25, v12, vcc_lo
	v_add_co_u32 v13, s2, v3, 2
	s_wait_alu 0xf1ff
	v_add_co_ci_u32_e64 v14, s2, 0, v9, s2
	v_sub_co_u32 v15, s2, v7, s24
	v_sub_co_ci_u32_e32 v8, vcc_lo, v11, v8, vcc_lo
	s_wait_alu 0xf1ff
	v_subrev_co_ci_u32_e64 v12, s2, 0, v12, s2
	s_delay_alu instid0(VALU_DEP_3) | instskip(NEXT) | instid1(VALU_DEP_3)
	v_cmp_le_u32_e32 vcc_lo, s24, v15
	v_cmp_eq_u32_e64 s2, s25, v8
	s_wait_alu 0xfffd
	v_cndmask_b32_e64 v15, 0, -1, vcc_lo
	v_cmp_le_u32_e32 vcc_lo, s25, v12
	s_wait_alu 0xfffd
	v_cndmask_b32_e64 v16, 0, -1, vcc_lo
	v_cmp_le_u32_e32 vcc_lo, s24, v7
	;; [unrolled: 3-line block ×3, first 2 shown]
	s_wait_alu 0xfffd
	v_cndmask_b32_e64 v17, 0, -1, vcc_lo
	v_cmp_eq_u32_e32 vcc_lo, s25, v12
	s_wait_alu 0xf1ff
	s_delay_alu instid0(VALU_DEP_2)
	v_cndmask_b32_e64 v7, v17, v7, s2
	s_wait_alu 0xfffd
	v_cndmask_b32_e32 v12, v16, v15, vcc_lo
	v_add_co_u32 v15, vcc_lo, v3, 1
	s_wait_alu 0xfffd
	v_add_co_ci_u32_e32 v16, vcc_lo, 0, v9, vcc_lo
	s_delay_alu instid0(VALU_DEP_3) | instskip(SKIP_1) | instid1(VALU_DEP_2)
	v_cmp_ne_u32_e32 vcc_lo, 0, v12
	s_wait_alu 0xfffd
	v_cndmask_b32_e32 v8, v16, v14, vcc_lo
	v_cndmask_b32_e32 v12, v15, v13, vcc_lo
	v_cmp_ne_u32_e32 vcc_lo, 0, v7
	s_wait_alu 0xfffd
	s_delay_alu instid0(VALU_DEP_3) | instskip(NEXT) | instid1(VALU_DEP_3)
	v_cndmask_b32_e32 v9, v9, v8, vcc_lo
	v_cndmask_b32_e32 v8, v3, v12, vcc_lo
.LBB0_4:                                ;   in Loop: Header=BB0_2 Depth=1
	s_wait_alu 0xfffe
	s_and_not1_saveexec_b32 s2, s26
	s_cbranch_execz .LBB0_6
; %bb.5:                                ;   in Loop: Header=BB0_2 Depth=1
	v_cvt_f32_u32_e32 v3, s24
	s_sub_co_i32 s26, 0, s24
	s_delay_alu instid0(VALU_DEP_1) | instskip(NEXT) | instid1(TRANS32_DEP_1)
	v_rcp_iflag_f32_e32 v3, v3
	v_mul_f32_e32 v3, 0x4f7ffffe, v3
	s_delay_alu instid0(VALU_DEP_1) | instskip(SKIP_1) | instid1(VALU_DEP_1)
	v_cvt_u32_f32_e32 v3, v3
	s_wait_alu 0xfffe
	v_mul_lo_u32 v7, s26, v3
	s_delay_alu instid0(VALU_DEP_1) | instskip(NEXT) | instid1(VALU_DEP_1)
	v_mul_hi_u32 v7, v3, v7
	v_add_nc_u32_e32 v3, v3, v7
	s_delay_alu instid0(VALU_DEP_1) | instskip(NEXT) | instid1(VALU_DEP_1)
	v_mul_hi_u32 v3, v10, v3
	v_mul_lo_u32 v7, v3, s24
	s_delay_alu instid0(VALU_DEP_1) | instskip(NEXT) | instid1(VALU_DEP_1)
	v_sub_nc_u32_e32 v7, v10, v7
	v_subrev_nc_u32_e32 v9, s24, v7
	v_cmp_le_u32_e32 vcc_lo, s24, v7
	s_wait_alu 0xfffd
	s_delay_alu instid0(VALU_DEP_2) | instskip(NEXT) | instid1(VALU_DEP_1)
	v_dual_cndmask_b32 v7, v7, v9 :: v_dual_add_nc_u32 v8, 1, v3
	v_cndmask_b32_e32 v3, v3, v8, vcc_lo
	v_mov_b32_e32 v9, v6
	s_delay_alu instid0(VALU_DEP_3) | instskip(NEXT) | instid1(VALU_DEP_3)
	v_cmp_le_u32_e32 vcc_lo, s24, v7
	v_add_nc_u32_e32 v8, 1, v3
	s_wait_alu 0xfffd
	s_delay_alu instid0(VALU_DEP_1)
	v_cndmask_b32_e32 v8, v3, v8, vcc_lo
.LBB0_6:                                ;   in Loop: Header=BB0_2 Depth=1
	s_wait_alu 0xfffe
	s_or_b32 exec_lo, exec_lo, s2
	v_mul_lo_u32 v3, v9, s24
	s_delay_alu instid0(VALU_DEP_2)
	v_mul_lo_u32 v7, v8, s25
	s_load_b64 s[26:27], s[18:19], 0x0
	v_mad_co_u64_u32 v[12:13], null, v8, s24, 0
	s_load_b64 s[24:25], s[16:17], 0x0
	s_add_nc_u64 s[20:21], s[20:21], 1
	s_add_nc_u64 s[16:17], s[16:17], 8
	s_wait_alu 0xfffe
	v_cmp_ge_u64_e64 s2, s[20:21], s[10:11]
	s_add_nc_u64 s[18:19], s[18:19], 8
	s_add_nc_u64 s[22:23], s[22:23], 8
	v_add3_u32 v3, v13, v7, v3
	v_sub_co_u32 v7, vcc_lo, v10, v12
	s_wait_alu 0xfffd
	s_delay_alu instid0(VALU_DEP_2) | instskip(SKIP_2) | instid1(VALU_DEP_1)
	v_sub_co_ci_u32_e32 v3, vcc_lo, v11, v3, vcc_lo
	s_and_b32 vcc_lo, exec_lo, s2
	s_wait_kmcnt 0x0
	v_mul_lo_u32 v10, s26, v3
	v_mul_lo_u32 v11, s27, v7
	v_mad_co_u64_u32 v[1:2], null, s26, v7, v[1:2]
	v_mul_lo_u32 v3, s24, v3
	v_mul_lo_u32 v12, s25, v7
	v_mad_co_u64_u32 v[4:5], null, s24, v7, v[4:5]
	s_delay_alu instid0(VALU_DEP_4) | instskip(NEXT) | instid1(VALU_DEP_2)
	v_add3_u32 v2, v11, v2, v10
	v_add3_u32 v5, v12, v5, v3
	s_wait_alu 0xfffe
	s_cbranch_vccnz .LBB0_9
; %bb.7:                                ;   in Loop: Header=BB0_2 Depth=1
	v_dual_mov_b32 v11, v9 :: v_dual_mov_b32 v10, v8
	s_branch .LBB0_2
.LBB0_8:
	v_dual_mov_b32 v5, v2 :: v_dual_mov_b32 v4, v1
	v_dual_mov_b32 v8, v10 :: v_dual_mov_b32 v9, v11
.LBB0_9:
	s_load_b64 s[0:1], s[0:1], 0x28
	v_mul_hi_u32 v3, 0x1555556, v0
	s_lshl_b64 s[10:11], s[10:11], 3
                                        ; implicit-def: $vgpr6
	s_wait_alu 0xfffe
	s_add_nc_u64 s[2:3], s[14:15], s[10:11]
	s_wait_kmcnt 0x0
	v_cmp_gt_u64_e32 vcc_lo, s[0:1], v[8:9]
	v_cmp_le_u64_e64 s0, s[0:1], v[8:9]
	s_delay_alu instid0(VALU_DEP_1)
	s_and_saveexec_b32 s1, s0
	s_wait_alu 0xfffe
	s_xor_b32 s0, exec_lo, s1
; %bb.10:
	v_mul_u32_u24_e32 v1, 0xc0, v3
                                        ; implicit-def: $vgpr3
	s_delay_alu instid0(VALU_DEP_1)
	v_sub_nc_u32_e32 v6, v0, v1
                                        ; implicit-def: $vgpr0
                                        ; implicit-def: $vgpr1_vgpr2
; %bb.11:
	s_wait_alu 0xfffe
	s_or_saveexec_b32 s1, s0
	s_load_b64 s[2:3], s[2:3], 0x0
	s_xor_b32 exec_lo, exec_lo, s1
	s_cbranch_execz .LBB0_15
; %bb.12:
	s_add_nc_u64 s[10:11], s[12:13], s[10:11]
	v_mul_u32_u24_e32 v3, 0xc0, v3
	s_load_b64 s[10:11], s[10:11], 0x0
	v_lshlrev_b64_e32 v[1:2], 4, v[1:2]
	s_wait_kmcnt 0x0
	v_mul_lo_u32 v10, s11, v8
	v_mul_lo_u32 v11, s10, v9
	v_mad_co_u64_u32 v[6:7], null, s10, v8, 0
	s_delay_alu instid0(VALU_DEP_1) | instskip(NEXT) | instid1(VALU_DEP_1)
	v_add3_u32 v7, v7, v11, v10
	v_lshlrev_b64_e32 v[10:11], 4, v[6:7]
	v_sub_nc_u32_e32 v6, v0, v3
	s_delay_alu instid0(VALU_DEP_1) | instskip(NEXT) | instid1(VALU_DEP_3)
	v_lshlrev_b32_e32 v7, 4, v6
	v_add_co_u32 v0, s0, s4, v10
	s_wait_alu 0xf1ff
	s_delay_alu instid0(VALU_DEP_4) | instskip(SKIP_1) | instid1(VALU_DEP_2)
	v_add_co_ci_u32_e64 v3, s0, s5, v11, s0
	s_mov_b32 s4, exec_lo
	v_add_co_u32 v0, s0, v0, v1
	s_wait_alu 0xf1ff
	s_delay_alu instid0(VALU_DEP_2) | instskip(NEXT) | instid1(VALU_DEP_2)
	v_add_co_ci_u32_e64 v1, s0, v3, v2, s0
	v_add_co_u32 v2, s0, v0, v7
	s_wait_alu 0xf1ff
	s_delay_alu instid0(VALU_DEP_2)
	v_add_co_ci_u32_e64 v3, s0, 0, v1, s0
	s_clause 0xb
	global_load_b128 v[10:13], v[2:3], off offset:3072
	global_load_b128 v[14:17], v[2:3], off offset:6144
	global_load_b128 v[18:21], v[2:3], off offset:9216
	global_load_b128 v[22:25], v[2:3], off offset:12288
	global_load_b128 v[26:29], v[2:3], off offset:15360
	global_load_b128 v[30:33], v[2:3], off offset:18432
	global_load_b128 v[34:37], v[2:3], off offset:21504
	global_load_b128 v[38:41], v[2:3], off offset:24576
	global_load_b128 v[42:45], v[2:3], off offset:27648
	global_load_b128 v[46:49], v[2:3], off offset:30720
	global_load_b128 v[50:53], v[2:3], off
	global_load_b128 v[54:57], v[2:3], off offset:33792
	v_add_nc_u32_e32 v2, 0, v7
	s_wait_loadcnt 0xb
	ds_store_b128 v2, v[10:13] offset:3072
	s_wait_loadcnt 0xa
	ds_store_b128 v2, v[14:17] offset:6144
	;; [unrolled: 2-line block ×10, first 2 shown]
	s_wait_loadcnt 0x1
	ds_store_b128 v2, v[50:53]
	s_wait_loadcnt 0x0
	ds_store_b128 v2, v[54:57] offset:33792
	v_cmpx_eq_u32_e32 0xbf, v6
	s_cbranch_execz .LBB0_14
; %bb.13:
	global_load_b128 v[0:3], v[0:1], off offset:36864
	v_dual_mov_b32 v7, 0 :: v_dual_mov_b32 v6, 0xbf
	s_wait_loadcnt 0x0
	ds_store_b128 v7, v[0:3] offset:36864
.LBB0_14:
	s_wait_alu 0xfffe
	s_or_b32 exec_lo, exec_lo, s4
.LBB0_15:
	s_delay_alu instid0(SALU_CYCLE_1)
	s_or_b32 exec_lo, exec_lo, s1
	v_lshlrev_b32_e32 v0, 4, v6
	global_wb scope:SCOPE_SE
	s_wait_dscnt 0x0
	s_wait_kmcnt 0x0
	s_barrier_signal -1
	s_barrier_wait -1
	global_inv scope:SCOPE_SE
	v_add_nc_u32_e32 v16, 0, v0
	v_sub_nc_u32_e32 v17, 0, v0
	s_mov_b32 s1, exec_lo
                                        ; implicit-def: $vgpr10_vgpr11
	ds_load_b64 v[12:13], v16
	ds_load_b64 v[14:15], v17 offset:36864
	s_wait_dscnt 0x0
	v_add_f64_e32 v[0:1], v[12:13], v[14:15]
	v_add_f64_e64 v[2:3], v[12:13], -v[14:15]
	v_cmpx_ne_u32_e32 0, v6
	s_wait_alu 0xfffe
	s_xor_b32 s1, exec_lo, s1
	s_cbranch_execz .LBB0_17
; %bb.16:
	v_mov_b32_e32 v7, 0
	v_add_f64_e32 v[10:11], v[12:13], v[14:15]
	v_add_f64_e64 v[22:23], v[12:13], -v[14:15]
	s_delay_alu instid0(VALU_DEP_3) | instskip(NEXT) | instid1(VALU_DEP_1)
	v_lshlrev_b64_e32 v[0:1], 4, v[6:7]
	v_add_co_u32 v0, s0, s8, v0
	s_wait_alu 0xf1ff
	s_delay_alu instid0(VALU_DEP_2)
	v_add_co_ci_u32_e64 v1, s0, s9, v1, s0
	global_load_b128 v[18:21], v[0:1], off offset:36768
	ds_load_b64 v[0:1], v17 offset:36872
	ds_load_b64 v[2:3], v16 offset:8
	s_wait_dscnt 0x0
	v_add_f64_e32 v[12:13], v[0:1], v[2:3]
	v_add_f64_e64 v[0:1], v[2:3], -v[0:1]
	s_wait_loadcnt 0x0
	v_fma_f64 v[2:3], v[22:23], v[20:21], v[10:11]
	v_fma_f64 v[10:11], -v[22:23], v[20:21], v[10:11]
	s_delay_alu instid0(VALU_DEP_3) | instskip(SKIP_1) | instid1(VALU_DEP_4)
	v_fma_f64 v[14:15], v[12:13], v[20:21], -v[0:1]
	v_fma_f64 v[20:21], v[12:13], v[20:21], v[0:1]
	v_fma_f64 v[0:1], -v[12:13], v[18:19], v[2:3]
	s_delay_alu instid0(VALU_DEP_4) | instskip(NEXT) | instid1(VALU_DEP_4)
	v_fma_f64 v[12:13], v[12:13], v[18:19], v[10:11]
	v_fma_f64 v[14:15], v[22:23], v[18:19], v[14:15]
	s_delay_alu instid0(VALU_DEP_4)
	v_fma_f64 v[2:3], v[22:23], v[18:19], v[20:21]
	v_dual_mov_b32 v11, v7 :: v_dual_mov_b32 v10, v6
	ds_store_b128 v17, v[12:15] offset:36864
.LBB0_17:
	s_wait_alu 0xfffe
	s_and_not1_saveexec_b32 s0, s1
	s_cbranch_execz .LBB0_19
; %bb.18:
	v_mov_b32_e32 v7, 0
	ds_load_b128 v[10:13], v7 offset:18432
	s_wait_dscnt 0x0
	v_add_f64_e32 v[18:19], v[10:11], v[10:11]
	v_mov_b32_e32 v10, 0
	v_mul_f64_e32 v[20:21], -2.0, v[12:13]
	v_mov_b32_e32 v11, 0
	ds_store_b128 v7, v[18:21] offset:18432
.LBB0_19:
	s_wait_alu 0xfffe
	s_or_b32 exec_lo, exec_lo, s0
	v_lshlrev_b64_e32 v[10:11], 4, v[10:11]
	s_add_nc_u64 s[0:1], s[8:9], 0x8fa0
	s_mov_b32 s4, 0xe8584caa
	s_mov_b32 s5, 0x3febb67a
	s_wait_alu 0xfffe
	s_delay_alu instid0(VALU_DEP_1)
	v_add_co_u32 v30, s0, s0, v10
	s_wait_alu 0xf1ff
	v_add_co_ci_u32_e64 v31, s0, s1, v11, s0
	s_mov_b32 s1, 0xbfebb67a
	s_mov_b32 s0, s4
	s_clause 0x1
	global_load_b128 v[10:13], v[30:31], off offset:3072
	global_load_b128 v[18:21], v[30:31], off offset:6144
	ds_store_b128 v16, v[0:3]
	ds_load_b128 v[0:3], v16 offset:3072
	ds_load_b128 v[22:25], v17 offset:33792
	global_load_b128 v[26:29], v[30:31], off offset:9216
	s_wait_dscnt 0x0
	v_add_f64_e32 v[14:15], v[0:1], v[22:23]
	v_add_f64_e32 v[32:33], v[24:25], v[2:3]
	v_add_f64_e64 v[22:23], v[0:1], -v[22:23]
	v_add_f64_e64 v[0:1], v[2:3], -v[24:25]
	s_wait_loadcnt 0x2
	s_delay_alu instid0(VALU_DEP_2) | instskip(NEXT) | instid1(VALU_DEP_2)
	v_fma_f64 v[2:3], v[22:23], v[12:13], v[14:15]
	v_fma_f64 v[24:25], v[32:33], v[12:13], v[0:1]
	v_fma_f64 v[14:15], -v[22:23], v[12:13], v[14:15]
	v_fma_f64 v[34:35], v[32:33], v[12:13], -v[0:1]
	s_delay_alu instid0(VALU_DEP_4) | instskip(NEXT) | instid1(VALU_DEP_4)
	v_fma_f64 v[0:1], -v[32:33], v[10:11], v[2:3]
	v_fma_f64 v[2:3], v[22:23], v[10:11], v[24:25]
	s_delay_alu instid0(VALU_DEP_4) | instskip(NEXT) | instid1(VALU_DEP_4)
	v_fma_f64 v[12:13], v[32:33], v[10:11], v[14:15]
	v_fma_f64 v[14:15], v[22:23], v[10:11], v[34:35]
	ds_store_b128 v16, v[0:3] offset:3072
	ds_store_b128 v17, v[12:15] offset:33792
	ds_load_b128 v[0:3], v16 offset:6144
	ds_load_b128 v[10:13], v17 offset:30720
	global_load_b128 v[22:25], v[30:31], off offset:12288
	s_wait_dscnt 0x0
	v_add_f64_e32 v[14:15], v[0:1], v[10:11]
	v_add_f64_e32 v[32:33], v[12:13], v[2:3]
	v_add_f64_e64 v[34:35], v[0:1], -v[10:11]
	v_add_f64_e64 v[0:1], v[2:3], -v[12:13]
	s_wait_loadcnt 0x2
	s_delay_alu instid0(VALU_DEP_2) | instskip(NEXT) | instid1(VALU_DEP_2)
	v_fma_f64 v[2:3], v[34:35], v[20:21], v[14:15]
	v_fma_f64 v[10:11], v[32:33], v[20:21], v[0:1]
	v_fma_f64 v[12:13], -v[34:35], v[20:21], v[14:15]
	v_fma_f64 v[14:15], v[32:33], v[20:21], -v[0:1]
	s_delay_alu instid0(VALU_DEP_4) | instskip(NEXT) | instid1(VALU_DEP_4)
	v_fma_f64 v[0:1], -v[32:33], v[18:19], v[2:3]
	v_fma_f64 v[2:3], v[34:35], v[18:19], v[10:11]
	s_delay_alu instid0(VALU_DEP_4) | instskip(NEXT) | instid1(VALU_DEP_4)
	v_fma_f64 v[10:11], v[32:33], v[18:19], v[12:13]
	v_fma_f64 v[12:13], v[34:35], v[18:19], v[14:15]
	ds_store_b128 v16, v[0:3] offset:6144
	ds_store_b128 v17, v[10:13] offset:30720
	ds_load_b128 v[0:3], v16 offset:9216
	ds_load_b128 v[10:13], v17 offset:27648
	global_load_b128 v[18:21], v[30:31], off offset:15360
	s_wait_dscnt 0x0
	v_add_f64_e32 v[14:15], v[0:1], v[10:11]
	v_add_f64_e32 v[30:31], v[12:13], v[2:3]
	v_add_f64_e64 v[32:33], v[0:1], -v[10:11]
	v_add_f64_e64 v[0:1], v[2:3], -v[12:13]
	s_wait_loadcnt 0x2
	s_delay_alu instid0(VALU_DEP_2) | instskip(NEXT) | instid1(VALU_DEP_2)
	v_fma_f64 v[2:3], v[32:33], v[28:29], v[14:15]
	v_fma_f64 v[10:11], v[30:31], v[28:29], v[0:1]
	v_fma_f64 v[12:13], -v[32:33], v[28:29], v[14:15]
	v_fma_f64 v[14:15], v[30:31], v[28:29], -v[0:1]
	s_delay_alu instid0(VALU_DEP_4) | instskip(NEXT) | instid1(VALU_DEP_4)
	v_fma_f64 v[0:1], -v[30:31], v[26:27], v[2:3]
	v_fma_f64 v[2:3], v[32:33], v[26:27], v[10:11]
	s_delay_alu instid0(VALU_DEP_4) | instskip(NEXT) | instid1(VALU_DEP_4)
	v_fma_f64 v[10:11], v[30:31], v[26:27], v[12:13]
	v_fma_f64 v[12:13], v[32:33], v[26:27], v[14:15]
	ds_store_b128 v16, v[0:3] offset:9216
	ds_store_b128 v17, v[10:13] offset:27648
	ds_load_b128 v[0:3], v16 offset:12288
	ds_load_b128 v[10:13], v17 offset:24576
	s_wait_dscnt 0x0
	v_add_f64_e32 v[14:15], v[0:1], v[10:11]
	v_add_f64_e32 v[26:27], v[12:13], v[2:3]
	v_add_f64_e64 v[28:29], v[0:1], -v[10:11]
	v_add_f64_e64 v[0:1], v[2:3], -v[12:13]
	s_wait_loadcnt 0x1
	s_delay_alu instid0(VALU_DEP_2) | instskip(NEXT) | instid1(VALU_DEP_2)
	v_fma_f64 v[2:3], v[28:29], v[24:25], v[14:15]
	v_fma_f64 v[10:11], v[26:27], v[24:25], v[0:1]
	v_fma_f64 v[12:13], -v[28:29], v[24:25], v[14:15]
	v_fma_f64 v[14:15], v[26:27], v[24:25], -v[0:1]
	s_delay_alu instid0(VALU_DEP_4) | instskip(NEXT) | instid1(VALU_DEP_4)
	v_fma_f64 v[0:1], -v[26:27], v[22:23], v[2:3]
	v_fma_f64 v[2:3], v[28:29], v[22:23], v[10:11]
	s_delay_alu instid0(VALU_DEP_4) | instskip(NEXT) | instid1(VALU_DEP_4)
	v_fma_f64 v[10:11], v[26:27], v[22:23], v[12:13]
	v_fma_f64 v[12:13], v[28:29], v[22:23], v[14:15]
	ds_store_b128 v16, v[0:3] offset:12288
	ds_store_b128 v17, v[10:13] offset:24576
	ds_load_b128 v[0:3], v16 offset:15360
	ds_load_b128 v[10:13], v17 offset:21504
	s_wait_dscnt 0x0
	v_add_f64_e32 v[14:15], v[0:1], v[10:11]
	v_add_f64_e32 v[22:23], v[12:13], v[2:3]
	v_add_f64_e64 v[24:25], v[0:1], -v[10:11]
	v_add_f64_e64 v[0:1], v[2:3], -v[12:13]
	s_wait_loadcnt 0x0
	s_delay_alu instid0(VALU_DEP_2) | instskip(NEXT) | instid1(VALU_DEP_2)
	v_fma_f64 v[2:3], v[24:25], v[20:21], v[14:15]
	v_fma_f64 v[10:11], v[22:23], v[20:21], v[0:1]
	v_fma_f64 v[12:13], -v[24:25], v[20:21], v[14:15]
	v_fma_f64 v[14:15], v[22:23], v[20:21], -v[0:1]
	s_delay_alu instid0(VALU_DEP_4) | instskip(NEXT) | instid1(VALU_DEP_4)
	v_fma_f64 v[0:1], -v[22:23], v[18:19], v[2:3]
	v_fma_f64 v[2:3], v[24:25], v[18:19], v[10:11]
	s_delay_alu instid0(VALU_DEP_4) | instskip(NEXT) | instid1(VALU_DEP_4)
	v_fma_f64 v[10:11], v[22:23], v[18:19], v[12:13]
	v_fma_f64 v[12:13], v[24:25], v[18:19], v[14:15]
	ds_store_b128 v16, v[0:3] offset:15360
	ds_store_b128 v17, v[10:13] offset:21504
	global_wb scope:SCOPE_SE
	s_wait_dscnt 0x0
	s_barrier_signal -1
	s_barrier_wait -1
	global_inv scope:SCOPE_SE
	global_wb scope:SCOPE_SE
	s_barrier_signal -1
	s_barrier_wait -1
	global_inv scope:SCOPE_SE
	ds_load_b128 v[0:3], v16 offset:18432
	ds_load_b128 v[10:13], v16 offset:30720
	;; [unrolled: 1-line block ×9, first 2 shown]
	s_wait_dscnt 0x7
	v_add_f64_e32 v[14:15], v[2:3], v[12:13]
	v_add_f64_e32 v[45:46], v[0:1], v[10:11]
	s_wait_dscnt 0x5
	v_add_f64_e32 v[47:48], v[19:20], v[23:24]
	v_add_f64_e32 v[49:50], v[17:18], v[21:22]
	v_add_f64_e64 v[53:54], v[2:3], -v[12:13]
	v_add_f64_e64 v[55:56], v[0:1], -v[10:11]
	;; [unrolled: 1-line block ×4, first 2 shown]
	s_wait_dscnt 0x3
	v_add_f64_e32 v[75:76], v[25:26], v[29:30]
	v_add_f64_e32 v[77:78], v[27:28], v[31:32]
	s_wait_dscnt 0x2
	v_add_f64_e32 v[0:1], v[33:34], v[0:1]
	v_add_f64_e32 v[2:3], v[35:36], v[2:3]
	;; [unrolled: 3-line block ×3, first 2 shown]
	v_fma_f64 v[14:15], v[14:15], -0.5, v[35:36]
	v_fma_f64 v[57:58], v[45:46], -0.5, v[33:34]
	;; [unrolled: 1-line block ×4, first 2 shown]
	ds_load_b128 v[45:48], v16 offset:12288
	ds_load_b128 v[49:52], v16 offset:24576
	s_wait_dscnt 0x2
	v_add_f64_e32 v[33:34], v[41:42], v[25:26]
	v_add_f64_e32 v[35:36], v[43:44], v[27:28]
	v_add_f64_e64 v[27:28], v[27:28], -v[31:32]
	v_fma_f64 v[41:42], v[75:76], -0.5, v[41:42]
	v_add_f64_e64 v[25:26], v[25:26], -v[29:30]
	v_fma_f64 v[43:44], v[77:78], -0.5, v[43:44]
	v_add_f64_e32 v[10:11], v[0:1], v[10:11]
	v_add_f64_e32 v[2:3], v[2:3], v[12:13]
	v_and_b32_e32 v1, 0xff, v6
	s_delay_alu instid0(VALU_DEP_1) | instskip(SKIP_1) | instid1(VALU_DEP_2)
	v_mul_lo_u16 v0, 0xab, v1
	v_mul_lo_u16 v1, v1, 57
	v_lshrrev_b16 v0, 10, v0
	s_wait_dscnt 0x0
	v_add_f64_e32 v[67:68], v[45:46], v[49:50]
	v_add_f64_e32 v[69:70], v[47:48], v[51:52]
	v_add_f64_e64 v[39:40], v[45:46], -v[49:50]
	v_mul_lo_u16 v7, v0, 6
	v_and_b32_e32 v0, 0xffff, v0
	s_delay_alu instid0(VALU_DEP_2) | instskip(NEXT) | instid1(VALU_DEP_2)
	v_sub_nc_u16 v7, v6, v7
	v_mul_u32_u24_e32 v0, 0x240, v0
	s_wait_alu 0xfffe
	v_fma_f64 v[71:72], v[55:56], s[0:1], v[14:15]
	v_fma_f64 v[73:74], v[53:54], s[0:1], v[57:58]
	;; [unrolled: 1-line block ×8, first 2 shown]
	ds_load_b128 v[53:56], v16
	v_add_f64_e64 v[65:66], v[47:48], -v[51:52]
	v_add_f64_e32 v[29:30], v[33:34], v[29:30]
	v_add_f64_e32 v[31:32], v[35:36], v[31:32]
	;; [unrolled: 1-line block ×4, first 2 shown]
	global_wb scope:SCOPE_SE
	s_wait_dscnt 0x0
	s_barrier_signal -1
	s_barrier_wait -1
	global_inv scope:SCOPE_SE
	v_add_f64_e32 v[63:64], v[53:54], v[45:46]
	v_add_f64_e32 v[47:48], v[55:56], v[47:48]
	v_fma_f64 v[37:38], v[67:68], -0.5, v[53:54]
	v_fma_f64 v[45:46], v[69:70], -0.5, v[55:56]
	v_mul_f64_e32 v[53:54], s[4:5], v[71:72]
	v_mul_f64_e32 v[55:56], -0.5, v[73:74]
	v_mul_f64_e32 v[67:68], s[0:1], v[57:58]
	v_mul_f64_e32 v[69:70], -0.5, v[14:15]
	;; [unrolled: 2-line block ×4, first 2 shown]
	v_add_f64_e32 v[21:22], v[29:30], v[33:34]
	v_add_f64_e32 v[23:24], v[31:32], v[35:36]
	;; [unrolled: 1-line block ×4, first 2 shown]
	v_fma_f64 v[51:52], v[65:66], s[4:5], v[37:38]
	v_fma_f64 v[63:64], v[65:66], s[0:1], v[37:38]
	;; [unrolled: 1-line block ×4, first 2 shown]
	v_fma_f64 v[37:38], v[57:58], 0.5, v[53:54]
	v_fma_f64 v[39:40], v[14:15], s[4:5], v[55:56]
	v_fma_f64 v[53:54], v[71:72], 0.5, v[67:68]
	v_fma_f64 v[55:56], v[73:74], s[0:1], v[69:70]
	v_fma_f64 v[57:58], v[27:28], s[4:5], v[41:42]
	;; [unrolled: 1-line block ×3, first 2 shown]
	v_fma_f64 v[59:60], v[59:60], 0.5, v[75:76]
	v_fma_f64 v[73:74], v[79:80], 0.5, v[83:84]
	v_fma_f64 v[67:68], v[27:28], s[0:1], v[41:42]
	v_fma_f64 v[71:72], v[25:26], s[4:5], v[43:44]
	v_fma_f64 v[61:62], v[61:62], s[4:5], v[77:78]
	v_fma_f64 v[75:76], v[81:82], s[0:1], v[85:86]
	v_add_f64_e64 v[25:26], v[29:30], -v[33:34]
	v_add_f64_e64 v[27:28], v[31:32], -v[35:36]
	v_add_f64_e32 v[12:13], v[49:50], v[10:11]
	v_add_f64_e32 v[14:15], v[47:48], v[2:3]
	v_add_f64_e64 v[17:18], v[49:50], -v[10:11]
	v_add_f64_e64 v[19:20], v[47:48], -v[2:3]
	v_add_nc_u32_e32 v2, 0xc0, v6
	v_and_b32_e32 v10, 0xff, v7
	s_delay_alu instid0(VALU_DEP_2)
	v_and_b32_e32 v3, 0xffff, v2
	v_add_f64_e32 v[29:30], v[51:52], v[37:38]
	v_add_f64_e32 v[33:34], v[63:64], v[39:40]
	;; [unrolled: 1-line block ×4, first 2 shown]
	v_add_f64_e64 v[37:38], v[51:52], -v[37:38]
	v_add_f64_e64 v[41:42], v[63:64], -v[39:40]
	;; [unrolled: 1-line block ×4, first 2 shown]
	v_add_f64_e32 v[45:46], v[57:58], v[59:60]
	v_add_f64_e32 v[47:48], v[69:70], v[73:74]
	;; [unrolled: 1-line block ×4, first 2 shown]
	v_add_f64_e64 v[53:54], v[57:58], -v[59:60]
	v_add_f64_e64 v[55:56], v[69:70], -v[73:74]
	;; [unrolled: 1-line block ×4, first 2 shown]
	v_mul_u32_u24_e32 v7, 5, v10
	v_mul_u32_u24_e32 v11, 0xaaab, v3
	v_mad_u32_u24 v61, 0x50, v6, v16
	ds_store_b128 v61, v[12:15]
	ds_store_b128 v61, v[29:32] offset:16
	ds_store_b128 v61, v[33:36] offset:32
	;; [unrolled: 1-line block ×11, first 2 shown]
	v_lshlrev_b32_e32 v7, 4, v7
	v_lshrrev_b32_e32 v11, 18, v11
	global_wb scope:SCOPE_SE
	s_wait_dscnt 0x0
	s_barrier_signal -1
	s_barrier_wait -1
	global_inv scope:SCOPE_SE
	s_clause 0x1
	global_load_b128 v[17:20], v7, s[8:9] offset:32
	global_load_b128 v[21:24], v7, s[8:9] offset:64
	v_mul_lo_u16 v62, v11, 6
	v_lshlrev_b32_e32 v10, 4, v10
	s_delay_alu instid0(VALU_DEP_2) | instskip(NEXT) | instid1(VALU_DEP_2)
	v_sub_nc_u16 v12, v2, v62
	v_add3_u32 v0, 0, v0, v10
	s_delay_alu instid0(VALU_DEP_2) | instskip(NEXT) | instid1(VALU_DEP_1)
	v_and_b32_e32 v13, 0xffff, v12
	v_mul_u32_u24_e32 v12, 5, v13
	s_delay_alu instid0(VALU_DEP_1)
	v_lshlrev_b32_e32 v12, 4, v12
	s_clause 0x7
	global_load_b128 v[25:28], v12, s[8:9] offset:32
	global_load_b128 v[29:32], v12, s[8:9] offset:64
	global_load_b128 v[33:36], v7, s[8:9]
	global_load_b128 v[37:40], v7, s[8:9] offset:16
	global_load_b128 v[41:44], v12, s[8:9]
	global_load_b128 v[45:48], v7, s[8:9] offset:48
	global_load_b128 v[49:52], v12, s[8:9] offset:16
	;; [unrolled: 1-line block ×3, first 2 shown]
	ds_load_b128 v[57:60], v16 offset:18432
	ds_load_b128 v[61:64], v16 offset:30720
	;; [unrolled: 1-line block ×6, first 2 shown]
	v_lshrrev_b16 v12, 11, v1
	s_delay_alu instid0(VALU_DEP_1) | instskip(NEXT) | instid1(VALU_DEP_1)
	v_mul_lo_u16 v1, v12, 36
	v_sub_nc_u16 v1, v6, v1
	s_delay_alu instid0(VALU_DEP_1) | instskip(SKIP_1) | instid1(VALU_DEP_2)
	v_and_b32_e32 v7, 0xff, v1
	v_mul_u32_u24_e32 v1, 0x240, v11
	v_mul_u32_u24_e32 v11, 3, v7
	v_lshlrev_b32_e32 v7, 4, v7
	s_delay_alu instid0(VALU_DEP_2)
	v_lshlrev_b32_e32 v10, 4, v11
	s_wait_loadcnt_dscnt 0x905
	v_mul_f64_e32 v[14:15], v[59:60], v[19:20]
	v_mul_f64_e32 v[19:20], v[57:58], v[19:20]
	s_wait_loadcnt_dscnt 0x804
	v_mul_f64_e32 v[81:82], v[63:64], v[23:24]
	v_mul_f64_e32 v[23:24], v[61:62], v[23:24]
	;; [unrolled: 3-line block ×4, first 2 shown]
	v_fma_f64 v[14:15], v[57:58], v[17:18], -v[14:15]
	v_fma_f64 v[87:88], v[59:60], v[17:18], v[19:20]
	ds_load_b128 v[17:20], v16 offset:6144
	ds_load_b128 v[57:60], v16 offset:12288
	v_fma_f64 v[81:82], v[61:62], v[21:22], -v[81:82]
	v_fma_f64 v[89:90], v[63:64], v[21:22], v[23:24]
	ds_load_b128 v[21:24], v16 offset:9216
	ds_load_b128 v[61:64], v16 offset:3072
	v_fma_f64 v[69:70], v[69:70], v[25:26], -v[83:84]
	s_wait_loadcnt_dscnt 0x503
	v_mul_f64_e32 v[91:92], v[19:20], v[35:36]
	v_mul_f64_e32 v[35:36], v[17:18], v[35:36]
	s_wait_loadcnt_dscnt 0x402
	v_mul_f64_e32 v[83:84], v[59:60], v[39:40]
	v_fma_f64 v[71:72], v[71:72], v[25:26], v[27:28]
	v_mul_f64_e32 v[39:40], v[57:58], v[39:40]
	s_wait_loadcnt_dscnt 0x301
	v_mul_f64_e32 v[93:94], v[23:24], v[43:44]
	v_fma_f64 v[77:78], v[77:78], v[29:30], -v[85:86]
	v_fma_f64 v[29:30], v[79:80], v[29:30], v[31:32]
	v_mul_f64_e32 v[31:32], v[21:22], v[43:44]
	ds_load_b128 v[25:28], v16 offset:24576
	s_wait_loadcnt_dscnt 0x200
	v_mul_f64_e32 v[43:44], v[27:28], v[47:48]
	v_fma_f64 v[79:80], v[17:18], v[33:34], -v[91:92]
	v_fma_f64 v[33:34], v[19:20], v[33:34], v[35:36]
	v_mul_f64_e32 v[17:18], v[25:26], v[47:48]
	v_fma_f64 v[35:36], v[57:58], v[37:38], -v[83:84]
	v_add_f64_e32 v[47:48], v[87:88], v[89:90]
	v_add_f64_e32 v[57:58], v[14:15], v[81:82]
	s_wait_loadcnt 0x1
	v_mul_f64_e32 v[19:20], v[67:68], v[51:52]
	v_fma_f64 v[37:38], v[59:60], v[37:38], v[39:40]
	v_mul_f64_e32 v[39:40], v[65:66], v[51:52]
	s_wait_loadcnt 0x0
	v_mul_f64_e32 v[51:52], v[75:76], v[55:56]
	v_mul_f64_e32 v[55:56], v[73:74], v[55:56]
	v_fma_f64 v[21:22], v[21:22], v[41:42], -v[93:94]
	v_fma_f64 v[23:24], v[23:24], v[41:42], v[31:32]
	v_add_f64_e32 v[31:32], v[71:72], v[29:30]
	v_add_f64_e32 v[41:42], v[69:70], v[77:78]
	v_fma_f64 v[25:26], v[25:26], v[45:46], -v[43:44]
	v_add_f64_e64 v[43:44], v[14:15], -v[81:82]
	v_add_f64_e32 v[14:15], v[79:80], v[14:15]
	v_fma_f64 v[27:28], v[27:28], v[45:46], v[17:18]
	v_add_f64_e64 v[17:18], v[87:88], -v[89:90]
	v_fma_f64 v[45:46], v[47:48], -0.5, v[33:34]
	v_fma_f64 v[47:48], v[57:58], -0.5, v[79:80]
	v_fma_f64 v[57:58], v[65:66], v[49:50], -v[19:20]
	v_add_f64_e32 v[33:34], v[33:34], v[87:88]
	v_fma_f64 v[39:40], v[67:68], v[49:50], v[39:40]
	v_fma_f64 v[49:50], v[73:74], v[53:54], -v[51:52]
	v_fma_f64 v[51:52], v[75:76], v[53:54], v[55:56]
	v_add_f64_e64 v[53:54], v[71:72], -v[29:30]
	v_add_f64_e64 v[55:56], v[69:70], -v[77:78]
	v_fma_f64 v[31:32], v[31:32], -0.5, v[23:24]
	v_fma_f64 v[41:42], v[41:42], -0.5, v[21:22]
	v_add_f64_e32 v[21:22], v[21:22], v[69:70]
	v_add_f64_e32 v[23:24], v[23:24], v[71:72]
	;; [unrolled: 1-line block ×5, first 2 shown]
	v_fma_f64 v[67:68], v[43:44], s[0:1], v[45:46]
	v_fma_f64 v[73:74], v[17:18], s[0:1], v[47:48]
	;; [unrolled: 1-line block ×4, first 2 shown]
	ds_load_b128 v[17:20], v16
	v_add_f64_e32 v[45:46], v[57:58], v[49:50]
	v_add_f64_e32 v[75:76], v[39:40], v[51:52]
	v_add_f64_e32 v[79:80], v[61:62], v[57:58]
	v_add_f64_e32 v[87:88], v[63:64], v[39:40]
	v_fma_f64 v[83:84], v[55:56], s[0:1], v[31:32]
	v_fma_f64 v[85:86], v[53:54], s[0:1], v[41:42]
	v_fma_f64 v[41:42], v[53:54], s[4:5], v[41:42]
	v_fma_f64 v[31:32], v[55:56], s[4:5], v[31:32]
	v_add_f64_e64 v[55:56], v[37:38], -v[27:28]
	v_add_f64_e64 v[39:40], v[39:40], -v[51:52]
	;; [unrolled: 1-line block ×3, first 2 shown]
	v_add_f64_e32 v[33:34], v[33:34], v[89:90]
	global_wb scope:SCOPE_SE
	s_wait_dscnt 0x0
	s_barrier_signal -1
	s_barrier_wait -1
	global_inv scope:SCOPE_SE
	v_add_f64_e32 v[53:54], v[17:18], v[35:36]
	v_add_f64_e32 v[37:38], v[19:20], v[37:38]
	v_fma_f64 v[17:18], v[59:60], -0.5, v[17:18]
	v_add_f64_e64 v[35:36], v[35:36], -v[25:26]
	v_fma_f64 v[19:20], v[65:66], -0.5, v[19:20]
	v_mul_f64_e32 v[59:60], s[4:5], v[67:68]
	v_mul_f64_e32 v[65:66], -0.5, v[73:74]
	v_mul_f64_e32 v[69:70], s[0:1], v[47:48]
	v_mul_f64_e32 v[71:72], -0.5, v[43:44]
	v_fma_f64 v[45:46], v[45:46], -0.5, v[61:62]
	v_fma_f64 v[61:62], v[75:76], -0.5, v[63:64]
	v_mul_f64_e32 v[63:64], s[4:5], v[83:84]
	v_mul_f64_e32 v[75:76], -0.5, v[85:86]
	v_mul_f64_e32 v[91:92], s[0:1], v[41:42]
	v_mul_f64_e32 v[93:94], -0.5, v[31:32]
	v_add_f64_e32 v[25:26], v[53:54], v[25:26]
	v_add_f64_e32 v[27:28], v[37:38], v[27:28]
	;; [unrolled: 1-line block ×5, first 2 shown]
	v_fma_f64 v[77:78], v[55:56], s[4:5], v[17:18]
	v_fma_f64 v[55:56], v[55:56], s[0:1], v[17:18]
	v_add_f64_e32 v[53:54], v[23:24], v[29:30]
	v_fma_f64 v[79:80], v[35:36], s[0:1], v[19:20]
	v_fma_f64 v[81:82], v[35:36], s[4:5], v[19:20]
	v_fma_f64 v[47:48], v[47:48], 0.5, v[59:60]
	v_fma_f64 v[43:44], v[43:44], s[4:5], v[65:66]
	v_fma_f64 v[59:60], v[67:68], 0.5, v[69:70]
	v_fma_f64 v[65:66], v[73:74], s[0:1], v[71:72]
	v_fma_f64 v[67:68], v[39:40], s[4:5], v[45:46]
	;; [unrolled: 1-line block ×5, first 2 shown]
	v_fma_f64 v[57:58], v[41:42], 0.5, v[63:64]
	v_fma_f64 v[61:62], v[31:32], s[4:5], v[75:76]
	v_fma_f64 v[63:64], v[83:84], 0.5, v[91:92]
	v_fma_f64 v[75:76], v[85:86], s[0:1], v[93:94]
	v_cmp_gt_u32_e64 s0, 0x90, v6
	v_add_f64_e32 v[17:18], v[25:26], v[14:15]
	v_add_f64_e32 v[19:20], v[27:28], v[33:34]
	v_add_f64_e64 v[23:24], v[27:28], -v[33:34]
	v_add_f64_e64 v[21:22], v[25:26], -v[14:15]
	v_add_f64_e32 v[25:26], v[37:38], v[51:52]
	v_add_f64_e64 v[29:30], v[37:38], -v[51:52]
	v_lshlrev_b32_e32 v14, 4, v13
	v_add_f64_e32 v[27:28], v[49:50], v[53:54]
	v_add_f64_e64 v[31:32], v[49:50], -v[53:54]
	v_mul_u32_u24_e32 v13, 0xe38f, v3
	v_add_nc_u32_e32 v3, 0x180, v6
	v_add3_u32 v1, 0, v1, v14
	v_add_f64_e32 v[33:34], v[77:78], v[47:48]
	v_add_f64_e32 v[37:38], v[55:56], v[43:44]
	;; [unrolled: 1-line block ×4, first 2 shown]
	v_add_f64_e64 v[41:42], v[77:78], -v[47:48]
	v_add_f64_e64 v[45:46], v[55:56], -v[43:44]
	;; [unrolled: 1-line block ×4, first 2 shown]
	v_lshrrev_b32_e32 v85, 21, v13
	v_add_f64_e32 v[49:50], v[67:68], v[57:58]
	v_add_f64_e32 v[53:54], v[69:70], v[61:62]
	;; [unrolled: 1-line block ×4, first 2 shown]
	v_add_f64_e64 v[57:58], v[67:68], -v[57:58]
	v_add_f64_e64 v[59:60], v[71:72], -v[63:64]
	;; [unrolled: 1-line block ×4, first 2 shown]
	ds_store_b128 v0, v[17:20]
	ds_store_b128 v0, v[33:36] offset:96
	ds_store_b128 v0, v[37:40] offset:192
	;; [unrolled: 1-line block ×5, first 2 shown]
	ds_store_b128 v1, v[25:28]
	ds_store_b128 v1, v[49:52] offset:96
	ds_store_b128 v1, v[53:56] offset:192
	;; [unrolled: 1-line block ×5, first 2 shown]
	v_mul_lo_u16 v0, v85, 36
	global_wb scope:SCOPE_SE
	s_wait_dscnt 0x0
	s_barrier_signal -1
	s_barrier_wait -1
	global_inv scope:SCOPE_SE
	s_clause 0x1
	global_load_b128 v[17:20], v10, s[8:9] offset:480
	global_load_b128 v[21:24], v10, s[8:9] offset:496
	v_sub_nc_u16 v0, v2, v0
	global_load_b128 v[25:28], v10, s[8:9] offset:512
	v_and_b32_e32 v1, 0xffff, v3
	v_lshrrev_b32_e32 v89, 23, v13
	v_and_b32_e32 v86, 0xffff, v0
	s_delay_alu instid0(VALU_DEP_3) | instskip(NEXT) | instid1(VALU_DEP_2)
	v_mul_u32_u24_e32 v11, 0xe38f, v1
	v_mul_u32_u24_e32 v0, 3, v86
	s_delay_alu instid0(VALU_DEP_2) | instskip(NEXT) | instid1(VALU_DEP_2)
	v_lshrrev_b32_e32 v87, 21, v11
	v_lshlrev_b32_e32 v0, 4, v0
	s_delay_alu instid0(VALU_DEP_2) | instskip(SKIP_4) | instid1(VALU_DEP_1)
	v_mul_lo_u16 v1, v87, 36
	s_clause 0x1
	global_load_b128 v[29:32], v0, s[8:9] offset:480
	global_load_b128 v[33:36], v0, s[8:9] offset:496
	v_sub_nc_u16 v1, v3, v1
	v_and_b32_e32 v88, 0xffff, v1
	s_delay_alu instid0(VALU_DEP_1) | instskip(NEXT) | instid1(VALU_DEP_1)
	v_mul_u32_u24_e32 v1, 3, v88
	v_lshlrev_b32_e32 v1, 4, v1
	s_clause 0x3
	global_load_b128 v[37:40], v0, s[8:9] offset:512
	global_load_b128 v[41:44], v1, s[8:9] offset:480
	;; [unrolled: 1-line block ×4, first 2 shown]
	ds_load_b128 v[53:56], v16 offset:9216
	ds_load_b128 v[57:60], v16 offset:18432
	;; [unrolled: 1-line block ×6, first 2 shown]
	s_wait_loadcnt_dscnt 0x805
	v_mul_f64_e32 v[0:1], v[55:56], v[19:20]
	v_mul_f64_e32 v[14:15], v[53:54], v[19:20]
	s_wait_loadcnt_dscnt 0x704
	v_mul_f64_e32 v[77:78], v[59:60], v[23:24]
	v_mul_f64_e32 v[23:24], v[57:58], v[23:24]
	;; [unrolled: 3-line block ×3, first 2 shown]
	s_wait_loadcnt 0x5
	v_mul_f64_e32 v[81:82], v[63:64], v[31:32]
	v_mul_f64_e32 v[31:32], v[61:62], v[31:32]
	v_fma_f64 v[0:1], v[53:54], v[17:18], -v[0:1]
	v_fma_f64 v[14:15], v[55:56], v[17:18], v[14:15]
	ds_load_b128 v[17:20], v16 offset:21504
	ds_load_b128 v[53:56], v16 offset:24576
	v_fma_f64 v[57:58], v[57:58], v[21:22], -v[77:78]
	v_fma_f64 v[59:60], v[59:60], v[21:22], v[23:24]
	ds_load_b128 v[21:24], v16 offset:33792
	s_wait_loadcnt_dscnt 0x303
	v_mul_f64_e32 v[83:84], v[75:76], v[39:40]
	v_fma_f64 v[65:66], v[65:66], v[25:26], -v[79:80]
	v_fma_f64 v[67:68], v[67:68], v[25:26], v[27:28]
	v_mul_f64_e32 v[25:26], v[73:74], v[39:40]
	s_wait_loadcnt 0x2
	v_mul_f64_e32 v[27:28], v[71:72], v[43:44]
	v_mul_f64_e32 v[39:40], v[69:70], v[43:44]
	s_wait_dscnt 0x2
	v_mul_f64_e32 v[77:78], v[19:20], v[35:36]
	v_mul_f64_e32 v[35:36], v[17:18], v[35:36]
	s_wait_loadcnt_dscnt 0x101
	v_mul_f64_e32 v[43:44], v[55:56], v[47:48]
	v_fma_f64 v[61:62], v[61:62], v[29:30], -v[81:82]
	v_fma_f64 v[29:30], v[63:64], v[29:30], v[31:32]
	v_mul_f64_e32 v[31:32], v[53:54], v[47:48]
	s_wait_loadcnt_dscnt 0x0
	v_mul_f64_e32 v[47:48], v[23:24], v[51:52]
	v_mul_f64_e32 v[51:52], v[21:22], v[51:52]
	v_fma_f64 v[69:70], v[69:70], v[41:42], -v[27:28]
	v_fma_f64 v[39:40], v[71:72], v[41:42], v[39:40]
	v_fma_f64 v[63:64], v[17:18], v[33:34], -v[77:78]
	v_fma_f64 v[33:34], v[19:20], v[33:34], v[35:36]
	v_fma_f64 v[35:36], v[73:74], v[37:38], -v[83:84]
	v_fma_f64 v[37:38], v[75:76], v[37:38], v[25:26]
	v_fma_f64 v[41:42], v[53:54], v[45:46], -v[43:44]
	v_fma_f64 v[31:32], v[55:56], v[45:46], v[31:32]
	v_fma_f64 v[43:44], v[21:22], v[49:50], -v[47:48]
	v_fma_f64 v[45:46], v[23:24], v[49:50], v[51:52]
	ds_load_b128 v[17:20], v16
	ds_load_b128 v[21:24], v16 offset:3072
	ds_load_b128 v[25:28], v16 offset:6144
	v_add_f64_e64 v[51:52], v[0:1], -v[65:66]
	v_add_f64_e64 v[53:54], v[14:15], -v[67:68]
	global_wb scope:SCOPE_SE
	s_wait_dscnt 0x0
	s_barrier_signal -1
	s_barrier_wait -1
	global_inv scope:SCOPE_SE
	v_add_f64_e64 v[47:48], v[17:18], -v[57:58]
	v_add_f64_e64 v[49:50], v[19:20], -v[59:60]
	;; [unrolled: 1-line block ×10, first 2 shown]
	v_fma_f64 v[0:1], v[0:1], 2.0, -v[51:52]
	v_fma_f64 v[14:15], v[14:15], 2.0, -v[53:54]
	;; [unrolled: 1-line block ×4, first 2 shown]
	v_add_f64_e32 v[19:20], v[49:50], v[51:52]
	v_add_f64_e64 v[17:18], v[47:48], -v[53:54]
	v_fma_f64 v[71:72], v[21:22], 2.0, -v[55:56]
	v_fma_f64 v[73:74], v[23:24], 2.0, -v[57:58]
	v_fma_f64 v[23:24], v[61:62], 2.0, -v[33:34]
	v_fma_f64 v[31:32], v[29:30], 2.0, -v[35:36]
	v_fma_f64 v[61:62], v[25:26], 2.0, -v[59:60]
	v_fma_f64 v[75:76], v[27:28], 2.0, -v[65:66]
	v_fma_f64 v[43:44], v[69:70], 2.0, -v[41:42]
	v_fma_f64 v[39:40], v[39:40], 2.0, -v[37:38]
	v_add_f64_e64 v[21:22], v[55:56], -v[35:36]
	v_add_f64_e32 v[35:36], v[65:66], v[41:42]
	v_lshlrev_b32_e32 v69, 4, v88
	v_add_f64_e64 v[25:26], v[63:64], -v[0:1]
	v_add_f64_e64 v[27:28], v[67:68], -v[14:15]
	v_add_nc_u32_e32 v0, 0xffffff70, v6
	v_fma_f64 v[41:42], v[47:48], 2.0, -v[17:18]
	v_dual_mov_b32 v1, 0 :: v_dual_and_b32 v14, 0xffff, v12
	v_mul_u32_u24_e32 v15, 0x900, v87
	s_wait_alu 0xf1ff
	v_cndmask_b32_e64 v10, v0, v6, s0
	s_delay_alu instid0(VALU_DEP_1)
	v_mul_i32_i24_e32 v0, 3, v10
	v_lshlrev_b32_e32 v10, 4, v10
	v_add_f64_e64 v[29:30], v[71:72], -v[23:24]
	v_add_f64_e64 v[31:32], v[73:74], -v[31:32]
	v_add_f64_e32 v[23:24], v[57:58], v[33:34]
	v_add_f64_e64 v[33:34], v[59:60], -v[37:38]
	v_add_f64_e64 v[37:38], v[61:62], -v[43:44]
	;; [unrolled: 1-line block ×3, first 2 shown]
	v_fma_f64 v[43:44], v[49:50], 2.0, -v[19:20]
	v_fma_f64 v[45:46], v[55:56], 2.0, -v[21:22]
	v_lshlrev_b64_e32 v[12:13], 4, v[0:1]
	v_mul_u32_u24_e32 v0, 0x900, v14
	v_mul_u32_u24_e32 v14, 0x900, v85
	s_delay_alu instid0(VALU_DEP_2) | instskip(SKIP_4) | instid1(VALU_DEP_2)
	v_add3_u32 v0, 0, v0, v7
	v_fma_f64 v[49:50], v[63:64], 2.0, -v[25:26]
	v_fma_f64 v[51:52], v[67:68], 2.0, -v[27:28]
	v_lshlrev_b32_e32 v68, 4, v86
	v_mul_lo_u16 v67, 0x90, v89
	v_add3_u32 v7, 0, v14, v68
	v_fma_f64 v[53:54], v[71:72], 2.0, -v[29:30]
	v_fma_f64 v[55:56], v[73:74], 2.0, -v[31:32]
	;; [unrolled: 1-line block ×7, first 2 shown]
	v_add_co_u32 v65, s0, s8, v12
	s_wait_alu 0xf1ff
	v_add_co_ci_u32_e64 v66, s0, s9, v13, s0
	v_add3_u32 v12, 0, v15, v69
	ds_store_b128 v0, v[25:28] offset:1152
	ds_store_b128 v0, v[17:20] offset:1728
	ds_store_b128 v0, v[49:52]
	ds_store_b128 v0, v[41:44] offset:576
	ds_store_b128 v7, v[53:56]
	ds_store_b128 v7, v[45:48] offset:576
	ds_store_b128 v7, v[29:32] offset:1152
	;; [unrolled: 1-line block ×3, first 2 shown]
	ds_store_b128 v12, v[61:64]
	ds_store_b128 v12, v[57:60] offset:576
	ds_store_b128 v12, v[37:40] offset:1152
	;; [unrolled: 1-line block ×3, first 2 shown]
	global_wb scope:SCOPE_SE
	s_wait_dscnt 0x0
	s_barrier_signal -1
	s_barrier_wait -1
	global_inv scope:SCOPE_SE
	s_clause 0x1
	global_load_b128 v[12:15], v[65:66], off offset:2208
	global_load_b128 v[17:20], v[65:66], off offset:2224
	v_sub_nc_u16 v0, v2, v67
	global_load_b128 v[21:24], v[65:66], off offset:2240
	v_lshrrev_b32_e32 v7, 23, v11
	v_cmp_lt_u32_e64 s0, 0x8f, v6
	v_and_b32_e32 v0, 0xffff, v0
	s_delay_alu instid0(VALU_DEP_3) | instskip(SKIP_1) | instid1(VALU_DEP_3)
	v_mul_lo_u16 v11, 0x90, v7
	v_mul_u32_u24_e32 v7, 0x2400, v7
	v_mul_u32_u24_e32 v2, 3, v0
	v_lshlrev_b32_e32 v0, 4, v0
	s_delay_alu instid0(VALU_DEP_4) | instskip(NEXT) | instid1(VALU_DEP_3)
	v_sub_nc_u16 v3, v3, v11
	v_lshlrev_b32_e32 v2, 4, v2
	s_delay_alu instid0(VALU_DEP_2) | instskip(SKIP_4) | instid1(VALU_DEP_1)
	v_and_b32_e32 v87, 0xffff, v3
	s_clause 0x1
	global_load_b128 v[25:28], v2, s[8:9] offset:2208
	global_load_b128 v[29:32], v2, s[8:9] offset:2224
	v_mul_u32_u24_e32 v3, 3, v87
	v_lshlrev_b32_e32 v3, 4, v3
	s_clause 0x3
	global_load_b128 v[33:36], v2, s[8:9] offset:2240
	global_load_b128 v[37:40], v3, s[8:9] offset:2208
	;; [unrolled: 1-line block ×4, first 2 shown]
	ds_load_b128 v[49:52], v16 offset:9216
	ds_load_b128 v[53:56], v16 offset:18432
	;; [unrolled: 1-line block ×7, first 2 shown]
	s_wait_loadcnt_dscnt 0x806
	v_mul_f64_e32 v[2:3], v[51:52], v[14:15]
	v_mul_f64_e32 v[14:15], v[49:50], v[14:15]
	s_wait_loadcnt_dscnt 0x705
	v_mul_f64_e32 v[77:78], v[55:56], v[19:20]
	v_mul_f64_e32 v[19:20], v[53:54], v[19:20]
	;; [unrolled: 3-line block ×4, first 2 shown]
	s_wait_loadcnt_dscnt 0x401
	v_mul_f64_e32 v[85:86], v[75:76], v[31:32]
	v_fma_f64 v[2:3], v[49:50], v[12:13], -v[2:3]
	v_fma_f64 v[83:84], v[51:52], v[12:13], v[14:15]
	ds_load_b128 v[11:14], v16 offset:24576
	ds_load_b128 v[49:52], v16 offset:33792
	v_fma_f64 v[53:54], v[53:54], v[17:18], -v[77:78]
	v_fma_f64 v[55:56], v[55:56], v[17:18], v[19:20]
	v_mul_f64_e32 v[17:18], v[73:74], v[31:32]
	s_wait_loadcnt_dscnt 0x302
	v_mul_f64_e32 v[19:20], v[71:72], v[35:36]
	v_mul_f64_e32 v[31:32], v[69:70], v[35:36]
	s_wait_loadcnt 0x2
	v_mul_f64_e32 v[35:36], v[67:68], v[39:40]
	v_fma_f64 v[57:58], v[57:58], v[21:22], -v[79:80]
	v_fma_f64 v[59:60], v[59:60], v[21:22], v[23:24]
	v_mul_f64_e32 v[21:22], v[65:66], v[39:40]
	v_mul_u32_u24_e32 v15, 0x2400, v89
	s_delay_alu instid0(VALU_DEP_1)
	v_add3_u32 v0, 0, v15, v0
	s_wait_loadcnt_dscnt 0x101
	v_mul_f64_e32 v[23:24], v[13:14], v[43:44]
	v_mul_f64_e32 v[39:40], v[11:12], v[43:44]
	s_wait_loadcnt_dscnt 0x0
	v_mul_f64_e32 v[43:44], v[51:52], v[47:48]
	v_fma_f64 v[61:62], v[61:62], v[25:26], -v[81:82]
	v_fma_f64 v[25:26], v[63:64], v[25:26], v[27:28]
	v_mul_f64_e32 v[27:28], v[49:50], v[47:48]
	v_fma_f64 v[47:48], v[73:74], v[29:30], -v[85:86]
	v_fma_f64 v[29:30], v[75:76], v[29:30], v[17:18]
	v_fma_f64 v[63:64], v[69:70], v[33:34], -v[19:20]
	v_fma_f64 v[31:32], v[71:72], v[33:34], v[31:32]
	;; [unrolled: 2-line block ×4, first 2 shown]
	v_fma_f64 v[41:42], v[49:50], v[45:46], -v[43:44]
	ds_load_b128 v[11:14], v16
	ds_load_b128 v[17:20], v16 offset:3072
	ds_load_b128 v[21:24], v16 offset:6144
	v_add_f64_e64 v[49:50], v[2:3], -v[57:58]
	v_fma_f64 v[27:28], v[51:52], v[45:46], v[27:28]
	v_add_f64_e64 v[51:52], v[83:84], -v[59:60]
	global_wb scope:SCOPE_SE
	s_wait_dscnt 0x0
	s_barrier_signal -1
	s_barrier_wait -1
	global_inv scope:SCOPE_SE
	v_add_f64_e64 v[43:44], v[11:12], -v[53:54]
	v_add_f64_e64 v[45:46], v[13:14], -v[55:56]
	;; [unrolled: 1-line block ×9, first 2 shown]
	v_fma_f64 v[2:3], v[2:3], 2.0, -v[49:50]
	v_add_f64_e64 v[39:40], v[35:36], -v[27:28]
	v_fma_f64 v[27:28], v[83:84], 2.0, -v[51:52]
	v_fma_f64 v[57:58], v[11:12], 2.0, -v[43:44]
	;; [unrolled: 1-line block ×7, first 2 shown]
	v_add_f64_e32 v[13:14], v[45:46], v[49:50]
	v_add_f64_e64 v[17:18], v[47:48], -v[31:32]
	v_add_f64_e64 v[11:12], v[43:44], -v[51:52]
	v_fma_f64 v[61:62], v[21:22], 2.0, -v[55:56]
	v_fma_f64 v[69:70], v[23:24], 2.0, -v[63:64]
	v_fma_f64 v[33:34], v[33:34], 2.0, -v[37:38]
	v_add_f64_e32 v[31:32], v[63:64], v[37:38]
	v_fma_f64 v[35:36], v[35:36], 2.0, -v[39:40]
	v_add_f64_e64 v[21:22], v[57:58], -v[2:3]
	v_add_f64_e64 v[23:24], v[59:60], -v[27:28]
	s_wait_alu 0xf1ff
	v_cndmask_b32_e64 v2, 0, 0x2400, s0
	v_mul_u32_u24_e32 v3, 3, v6
	v_add_f64_e64 v[25:26], v[65:66], -v[19:20]
	v_add_f64_e64 v[27:28], v[67:68], -v[41:42]
	v_add_f64_e32 v[19:20], v[53:54], v[29:30]
	v_add_f64_e64 v[29:30], v[55:56], -v[39:40]
	v_fma_f64 v[39:40], v[45:46], 2.0, -v[13:14]
	v_fma_f64 v[41:42], v[47:48], 2.0, -v[17:18]
	;; [unrolled: 1-line block ×3, first 2 shown]
	v_lshlrev_b32_e32 v3, 4, v3
	v_add3_u32 v2, 0, v2, v10
	v_add_f64_e64 v[33:34], v[61:62], -v[33:34]
	v_add_f64_e64 v[35:36], v[69:70], -v[35:36]
	v_fma_f64 v[45:46], v[57:58], 2.0, -v[21:22]
	v_fma_f64 v[47:48], v[59:60], 2.0, -v[23:24]
	;; [unrolled: 1-line block ×8, first 2 shown]
	v_lshlrev_b32_e32 v61, 4, v87
	v_fma_f64 v[59:60], v[69:70], 2.0, -v[35:36]
	s_delay_alu instid0(VALU_DEP_2)
	v_add3_u32 v7, 0, v7, v61
	ds_store_b128 v2, v[21:24] offset:4608
	ds_store_b128 v2, v[11:14] offset:6912
	ds_store_b128 v2, v[45:48]
	ds_store_b128 v2, v[37:40] offset:2304
	ds_store_b128 v0, v[49:52]
	ds_store_b128 v0, v[41:44] offset:2304
	ds_store_b128 v0, v[25:28] offset:4608
	;; [unrolled: 1-line block ×3, first 2 shown]
	ds_store_b128 v7, v[57:60]
	ds_store_b128 v7, v[53:56] offset:2304
	ds_store_b128 v7, v[33:36] offset:4608
	;; [unrolled: 1-line block ×3, first 2 shown]
	global_wb scope:SCOPE_SE
	s_wait_dscnt 0x0
	s_barrier_signal -1
	s_barrier_wait -1
	global_inv scope:SCOPE_SE
	s_clause 0x8
	global_load_b128 v[10:13], v3, s[8:9] offset:9120
	global_load_b128 v[17:20], v3, s[8:9] offset:9136
	;; [unrolled: 1-line block ×9, first 2 shown]
	ds_load_b128 v[49:52], v16 offset:9216
	ds_load_b128 v[53:56], v16 offset:18432
	;; [unrolled: 1-line block ×3, first 2 shown]
	s_wait_loadcnt_dscnt 0x802
	v_mul_f64_e32 v[2:3], v[51:52], v[12:13]
	v_mul_f64_e32 v[81:82], v[49:50], v[12:13]
	s_wait_loadcnt_dscnt 0x701
	v_mul_f64_e32 v[83:84], v[55:56], v[19:20]
	v_mul_f64_e32 v[19:20], v[53:54], v[19:20]
	;; [unrolled: 3-line block ×3, first 2 shown]
	ds_load_b128 v[12:15], v16 offset:15360
	ds_load_b128 v[61:64], v16 offset:27648
	;; [unrolled: 1-line block ×6, first 2 shown]
	s_wait_loadcnt_dscnt 0x504
	v_mul_f64_e32 v[87:88], v[63:64], v[27:28]
	v_mul_f64_e32 v[27:28], v[61:62], v[27:28]
	v_fma_f64 v[2:3], v[49:50], v[10:11], -v[2:3]
	v_fma_f64 v[49:50], v[51:52], v[10:11], v[81:82]
	s_wait_loadcnt_dscnt 0x403
	v_mul_f64_e32 v[10:11], v[67:68], v[31:32]
	v_mul_f64_e32 v[31:32], v[65:66], v[31:32]
	s_wait_loadcnt_dscnt 0x302
	v_mul_f64_e32 v[51:52], v[71:72], v[35:36]
	v_mul_f64_e32 v[35:36], v[69:70], v[35:36]
	v_fma_f64 v[53:54], v[53:54], v[17:18], -v[83:84]
	v_fma_f64 v[55:56], v[55:56], v[17:18], v[19:20]
	s_wait_loadcnt 0x2
	v_mul_f64_e32 v[17:18], v[14:15], v[39:40]
	v_mul_f64_e32 v[19:20], v[12:13], v[39:40]
	s_wait_loadcnt_dscnt 0x101
	v_mul_f64_e32 v[39:40], v[75:76], v[43:44]
	v_mul_f64_e32 v[43:44], v[73:74], v[43:44]
	v_fma_f64 v[57:58], v[57:58], v[21:22], -v[85:86]
	v_fma_f64 v[59:60], v[59:60], v[21:22], v[23:24]
	s_wait_loadcnt_dscnt 0x0
	v_mul_f64_e32 v[21:22], v[79:80], v[47:48]
	v_mul_f64_e32 v[23:24], v[77:78], v[47:48]
	v_fma_f64 v[47:48], v[61:62], v[25:26], -v[87:88]
	v_fma_f64 v[25:26], v[63:64], v[25:26], v[27:28]
	v_fma_f64 v[61:62], v[65:66], v[29:30], -v[10:11]
	v_fma_f64 v[29:30], v[67:68], v[29:30], v[31:32]
	;; [unrolled: 2-line block ×6, first 2 shown]
	ds_load_b128 v[10:13], v16
	ds_load_b128 v[17:20], v16 offset:3072
	ds_load_b128 v[21:24], v16 offset:6144
	global_wb scope:SCOPE_SE
	s_wait_dscnt 0x0
	s_barrier_signal -1
	s_barrier_wait -1
	global_inv scope:SCOPE_SE
	v_add_f64_e64 v[27:28], v[2:3], -v[47:48]
	v_add_f64_e64 v[25:26], v[49:50], -v[25:26]
	;; [unrolled: 1-line block ×12, first 2 shown]
	v_fma_f64 v[2:3], v[2:3], 2.0, -v[27:28]
	v_fma_f64 v[43:44], v[49:50], 2.0, -v[25:26]
	v_fma_f64 v[63:64], v[10:11], 2.0, -v[45:46]
	v_fma_f64 v[65:66], v[12:13], 2.0, -v[51:52]
	v_add_f64_e64 v[10:11], v[45:46], -v[25:26]
	v_add_f64_e32 v[12:13], v[51:52], v[27:28]
	v_fma_f64 v[67:68], v[17:18], 2.0, -v[47:48]
	v_fma_f64 v[69:70], v[19:20], 2.0, -v[53:54]
	v_fma_f64 v[39:40], v[57:58], 2.0, -v[29:30]
	v_fma_f64 v[41:42], v[59:60], 2.0, -v[31:32]
	v_add_f64_e64 v[17:18], v[47:48], -v[31:32]
	v_add_f64_e32 v[19:20], v[53:54], v[29:30]
	;; [unrolled: 6-line block ×3, first 2 shown]
	v_add_f64_e64 v[25:26], v[63:64], -v[2:3]
	v_add_f64_e64 v[27:28], v[65:66], -v[43:44]
	v_fma_f64 v[37:38], v[45:46], 2.0, -v[10:11]
	v_add_f64_e64 v[29:30], v[67:68], -v[39:40]
	v_add_f64_e64 v[31:32], v[69:70], -v[41:42]
	v_fma_f64 v[39:40], v[51:52], 2.0, -v[12:13]
	v_fma_f64 v[41:42], v[47:48], 2.0, -v[17:18]
	v_fma_f64 v[43:44], v[53:54], 2.0, -v[19:20]
	v_add_f64_e64 v[33:34], v[57:58], -v[35:36]
	v_add_f64_e64 v[35:36], v[59:60], -v[14:15]
	v_fma_f64 v[45:46], v[55:56], 2.0, -v[21:22]
	v_fma_f64 v[47:48], v[61:62], 2.0, -v[23:24]
	;; [unrolled: 1-line block ×8, first 2 shown]
	ds_store_b128 v16, v[10:13] offset:27648
	ds_store_b128 v16, v[17:20] offset:30720
	ds_store_b128 v16, v[37:40] offset:9216
	ds_store_b128 v16, v[41:44] offset:12288
	ds_store_b128 v16, v[25:28] offset:18432
	ds_store_b128 v16, v[45:48] offset:15360
	ds_store_b128 v16, v[29:32] offset:21504
	ds_store_b128 v16, v[33:36] offset:24576
	ds_store_b128 v16, v[53:56] offset:3072
	ds_store_b128 v16, v[57:60] offset:6144
	ds_store_b128 v16, v[49:52]
	ds_store_b128 v16, v[21:24] offset:33792
	global_wb scope:SCOPE_SE
	s_wait_dscnt 0x0
	s_barrier_signal -1
	s_barrier_wait -1
	global_inv scope:SCOPE_SE
	s_and_saveexec_b32 s0, vcc_lo
	s_cbranch_execz .LBB0_21
; %bb.20:
	v_mul_lo_u32 v0, s3, v8
	v_mul_lo_u32 v7, s2, v9
	v_mad_co_u64_u32 v[2:3], null, s2, v8, 0
	v_lshl_add_u32 v35, v6, 4, 0
	v_lshlrev_b64_e32 v[11:12], 4, v[4:5]
	s_delay_alu instid0(VALU_DEP_3) | instskip(SKIP_1) | instid1(VALU_DEP_2)
	v_add3_u32 v3, v3, v7, v0
	v_dual_mov_b32 v7, v1 :: v_dual_add_nc_u32 v0, 0xc0, v6
	v_lshlrev_b64_e32 v[13:14], 4, v[2:3]
	ds_load_b128 v[2:5], v35
	v_lshlrev_b64_e32 v[15:16], 4, v[6:7]
	ds_load_b128 v[7:10], v35 offset:3072
	v_add_co_u32 v17, vcc_lo, s6, v13
	s_wait_alu 0xfffd
	v_add_co_ci_u32_e32 v18, vcc_lo, s7, v14, vcc_lo
	v_lshlrev_b64_e32 v[13:14], 4, v[0:1]
	s_delay_alu instid0(VALU_DEP_3) | instskip(SKIP_1) | instid1(VALU_DEP_3)
	v_add_co_u32 v37, vcc_lo, v17, v11
	s_wait_alu 0xfffd
	v_add_co_ci_u32_e32 v38, vcc_lo, v18, v12, vcc_lo
	v_add_nc_u32_e32 v0, 0x180, v6
	s_delay_alu instid0(VALU_DEP_3) | instskip(SKIP_1) | instid1(VALU_DEP_3)
	v_add_co_u32 v19, vcc_lo, v37, v15
	s_wait_alu 0xfffd
	v_add_co_ci_u32_e32 v20, vcc_lo, v38, v16, vcc_lo
	v_add_co_u32 v21, vcc_lo, v37, v13
	v_lshlrev_b64_e32 v[23:24], 4, v[0:1]
	v_add_nc_u32_e32 v0, 0x240, v6
	s_wait_alu 0xfffd
	v_add_co_ci_u32_e32 v22, vcc_lo, v38, v14, vcc_lo
	ds_load_b128 v[11:14], v35 offset:6144
	ds_load_b128 v[15:18], v35 offset:33792
	s_wait_dscnt 0x3
	global_store_b128 v[19:20], v[2:5], off
	s_wait_dscnt 0x2
	global_store_b128 v[21:22], v[7:10], off
	v_lshlrev_b64_e32 v[25:26], 4, v[0:1]
	v_add_nc_u32_e32 v0, 0x300, v6
	ds_load_b128 v[2:5], v35 offset:9216
	ds_load_b128 v[7:10], v35 offset:12288
	;; [unrolled: 1-line block ×3, first 2 shown]
	v_add_co_u32 v23, vcc_lo, v37, v23
	v_lshlrev_b64_e32 v[27:28], 4, v[0:1]
	v_add_nc_u32_e32 v0, 0x3c0, v6
	s_wait_alu 0xfffd
	v_add_co_ci_u32_e32 v24, vcc_lo, v38, v24, vcc_lo
	v_add_co_u32 v25, vcc_lo, v37, v25
	s_delay_alu instid0(VALU_DEP_3)
	v_lshlrev_b64_e32 v[29:30], 4, v[0:1]
	s_wait_alu 0xfffd
	v_add_co_ci_u32_e32 v26, vcc_lo, v38, v26, vcc_lo
	v_add_nc_u32_e32 v0, 0x480, v6
	v_add_co_u32 v27, vcc_lo, v37, v27
	s_wait_alu 0xfffd
	v_add_co_ci_u32_e32 v28, vcc_lo, v38, v28, vcc_lo
	v_add_co_u32 v29, vcc_lo, v37, v29
	v_lshlrev_b64_e32 v[31:32], 4, v[0:1]
	v_add_nc_u32_e32 v0, 0x540, v6
	s_wait_alu 0xfffd
	v_add_co_ci_u32_e32 v30, vcc_lo, v38, v30, vcc_lo
	s_wait_dscnt 0x4
	global_store_b128 v[23:24], v[11:14], off
	s_wait_dscnt 0x2
	global_store_b128 v[25:26], v[2:5], off
	ds_load_b128 v[2:5], v35 offset:18432
	s_wait_dscnt 0x2
	global_store_b128 v[27:28], v[7:10], off
	s_wait_dscnt 0x1
	global_store_b128 v[29:30], v[19:22], off
	v_lshlrev_b64_e32 v[7:8], 4, v[0:1]
	v_add_nc_u32_e32 v0, 0x600, v6
	v_add_co_u32 v27, vcc_lo, v37, v31
	s_wait_alu 0xfffd
	v_add_co_ci_u32_e32 v28, vcc_lo, v38, v32, vcc_lo
	s_delay_alu instid0(VALU_DEP_3) | instskip(SKIP_4) | instid1(VALU_DEP_4)
	v_lshlrev_b64_e32 v[19:20], 4, v[0:1]
	v_add_co_u32 v29, vcc_lo, v37, v7
	v_add_nc_u32_e32 v0, 0x6c0, v6
	s_wait_alu 0xfffd
	v_add_co_ci_u32_e32 v30, vcc_lo, v38, v8, vcc_lo
	v_add_co_u32 v33, vcc_lo, v37, v19
	ds_load_b128 v[7:10], v35 offset:21504
	ds_load_b128 v[11:14], v35 offset:24576
	s_wait_alu 0xfffd
	v_add_co_ci_u32_e32 v34, vcc_lo, v38, v20, vcc_lo
	ds_load_b128 v[19:22], v35 offset:27648
	ds_load_b128 v[23:26], v35 offset:30720
	v_lshlrev_b64_e32 v[31:32], 4, v[0:1]
	v_add_nc_u32_e32 v0, 0x780, v6
	s_delay_alu instid0(VALU_DEP_1) | instskip(SKIP_1) | instid1(VALU_DEP_4)
	v_lshlrev_b64_e32 v[35:36], 4, v[0:1]
	v_add_nc_u32_e32 v0, 0x840, v6
	v_add_co_u32 v31, vcc_lo, v37, v31
	s_wait_alu 0xfffd
	v_add_co_ci_u32_e32 v32, vcc_lo, v38, v32, vcc_lo
	s_delay_alu instid0(VALU_DEP_3) | instskip(SKIP_3) | instid1(VALU_DEP_3)
	v_lshlrev_b64_e32 v[0:1], 4, v[0:1]
	v_add_co_u32 v35, vcc_lo, v37, v35
	s_wait_alu 0xfffd
	v_add_co_ci_u32_e32 v36, vcc_lo, v38, v36, vcc_lo
	v_add_co_u32 v0, vcc_lo, v37, v0
	s_wait_alu 0xfffd
	v_add_co_ci_u32_e32 v1, vcc_lo, v38, v1, vcc_lo
	s_wait_dscnt 0x4
	global_store_b128 v[27:28], v[2:5], off
	s_wait_dscnt 0x3
	global_store_b128 v[29:30], v[7:10], off
	;; [unrolled: 2-line block ×4, first 2 shown]
	s_wait_dscnt 0x0
	s_clause 0x1
	global_store_b128 v[35:36], v[23:26], off
	global_store_b128 v[0:1], v[15:18], off
.LBB0_21:
	s_nop 0
	s_sendmsg sendmsg(MSG_DEALLOC_VGPRS)
	s_endpgm
	.section	.rodata,"a",@progbits
	.p2align	6, 0x0
	.amdhsa_kernel fft_rtc_fwd_len2304_factors_6_6_4_4_4_wgs_192_tpt_192_halfLds_dp_op_CI_CI_unitstride_sbrr_C2R_dirReg
		.amdhsa_group_segment_fixed_size 0
		.amdhsa_private_segment_fixed_size 0
		.amdhsa_kernarg_size 104
		.amdhsa_user_sgpr_count 2
		.amdhsa_user_sgpr_dispatch_ptr 0
		.amdhsa_user_sgpr_queue_ptr 0
		.amdhsa_user_sgpr_kernarg_segment_ptr 1
		.amdhsa_user_sgpr_dispatch_id 0
		.amdhsa_user_sgpr_private_segment_size 0
		.amdhsa_wavefront_size32 1
		.amdhsa_uses_dynamic_stack 0
		.amdhsa_enable_private_segment 0
		.amdhsa_system_sgpr_workgroup_id_x 1
		.amdhsa_system_sgpr_workgroup_id_y 0
		.amdhsa_system_sgpr_workgroup_id_z 0
		.amdhsa_system_sgpr_workgroup_info 0
		.amdhsa_system_vgpr_workitem_id 0
		.amdhsa_next_free_vgpr 95
		.amdhsa_next_free_sgpr 39
		.amdhsa_reserve_vcc 1
		.amdhsa_float_round_mode_32 0
		.amdhsa_float_round_mode_16_64 0
		.amdhsa_float_denorm_mode_32 3
		.amdhsa_float_denorm_mode_16_64 3
		.amdhsa_fp16_overflow 0
		.amdhsa_workgroup_processor_mode 1
		.amdhsa_memory_ordered 1
		.amdhsa_forward_progress 0
		.amdhsa_round_robin_scheduling 0
		.amdhsa_exception_fp_ieee_invalid_op 0
		.amdhsa_exception_fp_denorm_src 0
		.amdhsa_exception_fp_ieee_div_zero 0
		.amdhsa_exception_fp_ieee_overflow 0
		.amdhsa_exception_fp_ieee_underflow 0
		.amdhsa_exception_fp_ieee_inexact 0
		.amdhsa_exception_int_div_zero 0
	.end_amdhsa_kernel
	.text
.Lfunc_end0:
	.size	fft_rtc_fwd_len2304_factors_6_6_4_4_4_wgs_192_tpt_192_halfLds_dp_op_CI_CI_unitstride_sbrr_C2R_dirReg, .Lfunc_end0-fft_rtc_fwd_len2304_factors_6_6_4_4_4_wgs_192_tpt_192_halfLds_dp_op_CI_CI_unitstride_sbrr_C2R_dirReg
                                        ; -- End function
	.section	.AMDGPU.csdata,"",@progbits
; Kernel info:
; codeLenInByte = 9744
; NumSgprs: 41
; NumVgprs: 95
; ScratchSize: 0
; MemoryBound: 0
; FloatMode: 240
; IeeeMode: 1
; LDSByteSize: 0 bytes/workgroup (compile time only)
; SGPRBlocks: 5
; VGPRBlocks: 11
; NumSGPRsForWavesPerEU: 41
; NumVGPRsForWavesPerEU: 95
; Occupancy: 15
; WaveLimiterHint : 1
; COMPUTE_PGM_RSRC2:SCRATCH_EN: 0
; COMPUTE_PGM_RSRC2:USER_SGPR: 2
; COMPUTE_PGM_RSRC2:TRAP_HANDLER: 0
; COMPUTE_PGM_RSRC2:TGID_X_EN: 1
; COMPUTE_PGM_RSRC2:TGID_Y_EN: 0
; COMPUTE_PGM_RSRC2:TGID_Z_EN: 0
; COMPUTE_PGM_RSRC2:TIDIG_COMP_CNT: 0
	.text
	.p2alignl 7, 3214868480
	.fill 96, 4, 3214868480
	.type	__hip_cuid_5eb7bc5b6d1043d0,@object ; @__hip_cuid_5eb7bc5b6d1043d0
	.section	.bss,"aw",@nobits
	.globl	__hip_cuid_5eb7bc5b6d1043d0
__hip_cuid_5eb7bc5b6d1043d0:
	.byte	0                               ; 0x0
	.size	__hip_cuid_5eb7bc5b6d1043d0, 1

	.ident	"AMD clang version 19.0.0git (https://github.com/RadeonOpenCompute/llvm-project roc-6.4.0 25133 c7fe45cf4b819c5991fe208aaa96edf142730f1d)"
	.section	".note.GNU-stack","",@progbits
	.addrsig
	.addrsig_sym __hip_cuid_5eb7bc5b6d1043d0
	.amdgpu_metadata
---
amdhsa.kernels:
  - .args:
      - .actual_access:  read_only
        .address_space:  global
        .offset:         0
        .size:           8
        .value_kind:     global_buffer
      - .offset:         8
        .size:           8
        .value_kind:     by_value
      - .actual_access:  read_only
        .address_space:  global
        .offset:         16
        .size:           8
        .value_kind:     global_buffer
      - .actual_access:  read_only
        .address_space:  global
        .offset:         24
        .size:           8
        .value_kind:     global_buffer
      - .actual_access:  read_only
        .address_space:  global
        .offset:         32
        .size:           8
        .value_kind:     global_buffer
      - .offset:         40
        .size:           8
        .value_kind:     by_value
      - .actual_access:  read_only
        .address_space:  global
        .offset:         48
        .size:           8
        .value_kind:     global_buffer
      - .actual_access:  read_only
        .address_space:  global
        .offset:         56
        .size:           8
        .value_kind:     global_buffer
      - .offset:         64
        .size:           4
        .value_kind:     by_value
      - .actual_access:  read_only
        .address_space:  global
        .offset:         72
        .size:           8
        .value_kind:     global_buffer
      - .actual_access:  read_only
        .address_space:  global
        .offset:         80
        .size:           8
        .value_kind:     global_buffer
      - .actual_access:  read_only
        .address_space:  global
        .offset:         88
        .size:           8
        .value_kind:     global_buffer
      - .actual_access:  write_only
        .address_space:  global
        .offset:         96
        .size:           8
        .value_kind:     global_buffer
    .group_segment_fixed_size: 0
    .kernarg_segment_align: 8
    .kernarg_segment_size: 104
    .language:       OpenCL C
    .language_version:
      - 2
      - 0
    .max_flat_workgroup_size: 192
    .name:           fft_rtc_fwd_len2304_factors_6_6_4_4_4_wgs_192_tpt_192_halfLds_dp_op_CI_CI_unitstride_sbrr_C2R_dirReg
    .private_segment_fixed_size: 0
    .sgpr_count:     41
    .sgpr_spill_count: 0
    .symbol:         fft_rtc_fwd_len2304_factors_6_6_4_4_4_wgs_192_tpt_192_halfLds_dp_op_CI_CI_unitstride_sbrr_C2R_dirReg.kd
    .uniform_work_group_size: 1
    .uses_dynamic_stack: false
    .vgpr_count:     95
    .vgpr_spill_count: 0
    .wavefront_size: 32
    .workgroup_processor_mode: 1
amdhsa.target:   amdgcn-amd-amdhsa--gfx1201
amdhsa.version:
  - 1
  - 2
...

	.end_amdgpu_metadata
